;; amdgpu-corpus repo=ROCm/rocFFT kind=compiled arch=gfx1100 opt=O3
	.text
	.amdgcn_target "amdgcn-amd-amdhsa--gfx1100"
	.amdhsa_code_object_version 6
	.protected	fft_rtc_fwd_len702_factors_13_3_6_3_wgs_117_tpt_117_halfLds_half_op_CI_CI_unitstride_sbrr_C2R_dirReg ; -- Begin function fft_rtc_fwd_len702_factors_13_3_6_3_wgs_117_tpt_117_halfLds_half_op_CI_CI_unitstride_sbrr_C2R_dirReg
	.globl	fft_rtc_fwd_len702_factors_13_3_6_3_wgs_117_tpt_117_halfLds_half_op_CI_CI_unitstride_sbrr_C2R_dirReg
	.p2align	8
	.type	fft_rtc_fwd_len702_factors_13_3_6_3_wgs_117_tpt_117_halfLds_half_op_CI_CI_unitstride_sbrr_C2R_dirReg,@function
fft_rtc_fwd_len702_factors_13_3_6_3_wgs_117_tpt_117_halfLds_half_op_CI_CI_unitstride_sbrr_C2R_dirReg: ; @fft_rtc_fwd_len702_factors_13_3_6_3_wgs_117_tpt_117_halfLds_half_op_CI_CI_unitstride_sbrr_C2R_dirReg
; %bb.0:
	s_clause 0x2
	s_load_b128 s[8:11], s[0:1], 0x0
	s_load_b128 s[4:7], s[0:1], 0x58
	;; [unrolled: 1-line block ×3, first 2 shown]
	v_mul_u32_u24_e32 v1, 0x231, v0
	v_mov_b32_e32 v8, 0
	v_mov_b32_e32 v6, 0
	;; [unrolled: 1-line block ×3, first 2 shown]
	s_delay_alu instid0(VALU_DEP_4) | instskip(NEXT) | instid1(VALU_DEP_1)
	v_lshrrev_b32_e32 v1, 16, v1
	v_dual_mov_b32 v11, v8 :: v_dual_add_nc_u32 v10, s15, v1
	s_waitcnt lgkmcnt(0)
	v_cmp_lt_u64_e64 s2, s[10:11], 2
	s_delay_alu instid0(VALU_DEP_1)
	s_and_b32 vcc_lo, exec_lo, s2
	s_cbranch_vccnz .LBB0_8
; %bb.1:
	s_load_b64 s[2:3], s[0:1], 0x10
	v_mov_b32_e32 v6, 0
	v_mov_b32_e32 v7, 0
	s_add_u32 s12, s18, 8
	s_addc_u32 s13, s19, 0
	s_add_u32 s14, s16, 8
	s_delay_alu instid0(VALU_DEP_1)
	v_dual_mov_b32 v1, v6 :: v_dual_mov_b32 v2, v7
	s_addc_u32 s15, s17, 0
	s_mov_b64 s[22:23], 1
	s_waitcnt lgkmcnt(0)
	s_add_u32 s20, s2, 8
	s_addc_u32 s21, s3, 0
.LBB0_2:                                ; =>This Inner Loop Header: Depth=1
	s_load_b64 s[24:25], s[20:21], 0x0
                                        ; implicit-def: $vgpr3_vgpr4
	s_mov_b32 s2, exec_lo
	s_waitcnt lgkmcnt(0)
	v_or_b32_e32 v9, s25, v11
	s_delay_alu instid0(VALU_DEP_1)
	v_cmpx_ne_u64_e32 0, v[8:9]
	s_xor_b32 s3, exec_lo, s2
	s_cbranch_execz .LBB0_4
; %bb.3:                                ;   in Loop: Header=BB0_2 Depth=1
	v_cvt_f32_u32_e32 v3, s24
	v_cvt_f32_u32_e32 v4, s25
	s_sub_u32 s2, 0, s24
	s_subb_u32 s26, 0, s25
	s_delay_alu instid0(VALU_DEP_1) | instskip(NEXT) | instid1(VALU_DEP_1)
	v_fmac_f32_e32 v3, 0x4f800000, v4
	v_rcp_f32_e32 v3, v3
	s_waitcnt_depctr 0xfff
	v_mul_f32_e32 v3, 0x5f7ffffc, v3
	s_delay_alu instid0(VALU_DEP_1) | instskip(NEXT) | instid1(VALU_DEP_1)
	v_mul_f32_e32 v4, 0x2f800000, v3
	v_trunc_f32_e32 v4, v4
	s_delay_alu instid0(VALU_DEP_1) | instskip(SKIP_1) | instid1(VALU_DEP_2)
	v_fmac_f32_e32 v3, 0xcf800000, v4
	v_cvt_u32_f32_e32 v4, v4
	v_cvt_u32_f32_e32 v3, v3
	s_delay_alu instid0(VALU_DEP_2) | instskip(NEXT) | instid1(VALU_DEP_2)
	v_mul_lo_u32 v5, s2, v4
	v_mul_hi_u32 v9, s2, v3
	v_mul_lo_u32 v12, s26, v3
	s_delay_alu instid0(VALU_DEP_2) | instskip(SKIP_1) | instid1(VALU_DEP_2)
	v_add_nc_u32_e32 v5, v9, v5
	v_mul_lo_u32 v9, s2, v3
	v_add_nc_u32_e32 v5, v5, v12
	s_delay_alu instid0(VALU_DEP_2) | instskip(NEXT) | instid1(VALU_DEP_2)
	v_mul_hi_u32 v12, v3, v9
	v_mul_lo_u32 v13, v3, v5
	v_mul_hi_u32 v14, v3, v5
	v_mul_hi_u32 v15, v4, v9
	v_mul_lo_u32 v9, v4, v9
	v_mul_hi_u32 v16, v4, v5
	v_mul_lo_u32 v5, v4, v5
	v_add_co_u32 v12, vcc_lo, v12, v13
	v_add_co_ci_u32_e32 v13, vcc_lo, 0, v14, vcc_lo
	s_delay_alu instid0(VALU_DEP_2) | instskip(NEXT) | instid1(VALU_DEP_2)
	v_add_co_u32 v9, vcc_lo, v12, v9
	v_add_co_ci_u32_e32 v9, vcc_lo, v13, v15, vcc_lo
	v_add_co_ci_u32_e32 v12, vcc_lo, 0, v16, vcc_lo
	s_delay_alu instid0(VALU_DEP_2) | instskip(NEXT) | instid1(VALU_DEP_2)
	v_add_co_u32 v5, vcc_lo, v9, v5
	v_add_co_ci_u32_e32 v9, vcc_lo, 0, v12, vcc_lo
	s_delay_alu instid0(VALU_DEP_2) | instskip(NEXT) | instid1(VALU_DEP_2)
	v_add_co_u32 v3, vcc_lo, v3, v5
	v_add_co_ci_u32_e32 v4, vcc_lo, v4, v9, vcc_lo
	s_delay_alu instid0(VALU_DEP_2) | instskip(SKIP_1) | instid1(VALU_DEP_3)
	v_mul_hi_u32 v5, s2, v3
	v_mul_lo_u32 v12, s26, v3
	v_mul_lo_u32 v9, s2, v4
	s_delay_alu instid0(VALU_DEP_1) | instskip(SKIP_1) | instid1(VALU_DEP_2)
	v_add_nc_u32_e32 v5, v5, v9
	v_mul_lo_u32 v9, s2, v3
	v_add_nc_u32_e32 v5, v5, v12
	s_delay_alu instid0(VALU_DEP_2) | instskip(NEXT) | instid1(VALU_DEP_2)
	v_mul_hi_u32 v12, v3, v9
	v_mul_lo_u32 v13, v3, v5
	v_mul_hi_u32 v14, v3, v5
	v_mul_hi_u32 v15, v4, v9
	v_mul_lo_u32 v9, v4, v9
	v_mul_hi_u32 v16, v4, v5
	v_mul_lo_u32 v5, v4, v5
	v_add_co_u32 v12, vcc_lo, v12, v13
	v_add_co_ci_u32_e32 v13, vcc_lo, 0, v14, vcc_lo
	s_delay_alu instid0(VALU_DEP_2) | instskip(NEXT) | instid1(VALU_DEP_2)
	v_add_co_u32 v9, vcc_lo, v12, v9
	v_add_co_ci_u32_e32 v9, vcc_lo, v13, v15, vcc_lo
	v_add_co_ci_u32_e32 v12, vcc_lo, 0, v16, vcc_lo
	s_delay_alu instid0(VALU_DEP_2) | instskip(NEXT) | instid1(VALU_DEP_2)
	v_add_co_u32 v5, vcc_lo, v9, v5
	v_add_co_ci_u32_e32 v9, vcc_lo, 0, v12, vcc_lo
	s_delay_alu instid0(VALU_DEP_2) | instskip(NEXT) | instid1(VALU_DEP_2)
	v_add_co_u32 v5, vcc_lo, v3, v5
	v_add_co_ci_u32_e32 v9, vcc_lo, v4, v9, vcc_lo
	s_delay_alu instid0(VALU_DEP_2) | instskip(SKIP_1) | instid1(VALU_DEP_3)
	v_mul_hi_u32 v16, v10, v5
	v_mad_u64_u32 v[12:13], null, v11, v5, 0
	v_mad_u64_u32 v[3:4], null, v10, v9, 0
	;; [unrolled: 1-line block ×3, first 2 shown]
	s_delay_alu instid0(VALU_DEP_2) | instskip(NEXT) | instid1(VALU_DEP_3)
	v_add_co_u32 v3, vcc_lo, v16, v3
	v_add_co_ci_u32_e32 v4, vcc_lo, 0, v4, vcc_lo
	s_delay_alu instid0(VALU_DEP_2) | instskip(NEXT) | instid1(VALU_DEP_2)
	v_add_co_u32 v3, vcc_lo, v3, v12
	v_add_co_ci_u32_e32 v3, vcc_lo, v4, v13, vcc_lo
	v_add_co_ci_u32_e32 v4, vcc_lo, 0, v15, vcc_lo
	s_delay_alu instid0(VALU_DEP_2) | instskip(NEXT) | instid1(VALU_DEP_2)
	v_add_co_u32 v5, vcc_lo, v3, v14
	v_add_co_ci_u32_e32 v9, vcc_lo, 0, v4, vcc_lo
	s_delay_alu instid0(VALU_DEP_2) | instskip(SKIP_1) | instid1(VALU_DEP_3)
	v_mul_lo_u32 v12, s25, v5
	v_mad_u64_u32 v[3:4], null, s24, v5, 0
	v_mul_lo_u32 v13, s24, v9
	s_delay_alu instid0(VALU_DEP_2) | instskip(NEXT) | instid1(VALU_DEP_2)
	v_sub_co_u32 v3, vcc_lo, v10, v3
	v_add3_u32 v4, v4, v13, v12
	s_delay_alu instid0(VALU_DEP_1) | instskip(NEXT) | instid1(VALU_DEP_1)
	v_sub_nc_u32_e32 v12, v11, v4
	v_subrev_co_ci_u32_e64 v12, s2, s25, v12, vcc_lo
	v_add_co_u32 v13, s2, v5, 2
	s_delay_alu instid0(VALU_DEP_1) | instskip(SKIP_3) | instid1(VALU_DEP_3)
	v_add_co_ci_u32_e64 v14, s2, 0, v9, s2
	v_sub_co_u32 v15, s2, v3, s24
	v_sub_co_ci_u32_e32 v4, vcc_lo, v11, v4, vcc_lo
	v_subrev_co_ci_u32_e64 v12, s2, 0, v12, s2
	v_cmp_le_u32_e32 vcc_lo, s24, v15
	s_delay_alu instid0(VALU_DEP_3) | instskip(SKIP_1) | instid1(VALU_DEP_4)
	v_cmp_eq_u32_e64 s2, s25, v4
	v_cndmask_b32_e64 v15, 0, -1, vcc_lo
	v_cmp_le_u32_e32 vcc_lo, s25, v12
	v_cndmask_b32_e64 v16, 0, -1, vcc_lo
	v_cmp_le_u32_e32 vcc_lo, s24, v3
	;; [unrolled: 2-line block ×3, first 2 shown]
	v_cndmask_b32_e64 v17, 0, -1, vcc_lo
	v_cmp_eq_u32_e32 vcc_lo, s25, v12
	s_delay_alu instid0(VALU_DEP_2) | instskip(SKIP_3) | instid1(VALU_DEP_3)
	v_cndmask_b32_e64 v3, v17, v3, s2
	v_cndmask_b32_e32 v12, v16, v15, vcc_lo
	v_add_co_u32 v15, vcc_lo, v5, 1
	v_add_co_ci_u32_e32 v16, vcc_lo, 0, v9, vcc_lo
	v_cmp_ne_u32_e32 vcc_lo, 0, v12
	s_delay_alu instid0(VALU_DEP_3) | instskip(NEXT) | instid1(VALU_DEP_3)
	v_cndmask_b32_e32 v12, v15, v13, vcc_lo
	v_cndmask_b32_e32 v4, v16, v14, vcc_lo
	v_cmp_ne_u32_e32 vcc_lo, 0, v3
	s_delay_alu instid0(VALU_DEP_2) | instskip(NEXT) | instid1(VALU_DEP_4)
	v_cndmask_b32_e32 v4, v9, v4, vcc_lo
	v_cndmask_b32_e32 v3, v5, v12, vcc_lo
.LBB0_4:                                ;   in Loop: Header=BB0_2 Depth=1
	s_and_not1_saveexec_b32 s2, s3
	s_cbranch_execz .LBB0_6
; %bb.5:                                ;   in Loop: Header=BB0_2 Depth=1
	v_cvt_f32_u32_e32 v3, s24
	s_sub_i32 s3, 0, s24
	s_delay_alu instid0(VALU_DEP_1) | instskip(SKIP_2) | instid1(VALU_DEP_1)
	v_rcp_iflag_f32_e32 v3, v3
	s_waitcnt_depctr 0xfff
	v_mul_f32_e32 v3, 0x4f7ffffe, v3
	v_cvt_u32_f32_e32 v3, v3
	s_delay_alu instid0(VALU_DEP_1) | instskip(NEXT) | instid1(VALU_DEP_1)
	v_mul_lo_u32 v4, s3, v3
	v_mul_hi_u32 v4, v3, v4
	s_delay_alu instid0(VALU_DEP_1) | instskip(NEXT) | instid1(VALU_DEP_1)
	v_add_nc_u32_e32 v3, v3, v4
	v_mul_hi_u32 v3, v10, v3
	s_delay_alu instid0(VALU_DEP_1) | instskip(SKIP_1) | instid1(VALU_DEP_2)
	v_mul_lo_u32 v4, v3, s24
	v_add_nc_u32_e32 v5, 1, v3
	v_sub_nc_u32_e32 v4, v10, v4
	s_delay_alu instid0(VALU_DEP_1) | instskip(SKIP_1) | instid1(VALU_DEP_2)
	v_subrev_nc_u32_e32 v9, s24, v4
	v_cmp_le_u32_e32 vcc_lo, s24, v4
	v_cndmask_b32_e32 v4, v4, v9, vcc_lo
	v_cndmask_b32_e32 v3, v3, v5, vcc_lo
	s_delay_alu instid0(VALU_DEP_2) | instskip(NEXT) | instid1(VALU_DEP_2)
	v_cmp_le_u32_e32 vcc_lo, s24, v4
	v_dual_mov_b32 v4, v8 :: v_dual_add_nc_u32 v5, 1, v3
	s_delay_alu instid0(VALU_DEP_1)
	v_cndmask_b32_e32 v3, v3, v5, vcc_lo
.LBB0_6:                                ;   in Loop: Header=BB0_2 Depth=1
	s_or_b32 exec_lo, exec_lo, s2
	s_delay_alu instid0(VALU_DEP_2) | instskip(NEXT) | instid1(VALU_DEP_2)
	v_mul_lo_u32 v5, v4, s24
	v_mul_lo_u32 v9, v3, s25
	s_load_b64 s[2:3], s[14:15], 0x0
	v_mad_u64_u32 v[12:13], null, v3, s24, 0
	s_load_b64 s[24:25], s[12:13], 0x0
	s_add_u32 s22, s22, 1
	s_addc_u32 s23, s23, 0
	s_add_u32 s12, s12, 8
	s_addc_u32 s13, s13, 0
	s_add_u32 s14, s14, 8
	s_delay_alu instid0(VALU_DEP_1) | instskip(SKIP_3) | instid1(VALU_DEP_2)
	v_add3_u32 v5, v13, v9, v5
	v_sub_co_u32 v13, vcc_lo, v10, v12
	s_addc_u32 s15, s15, 0
	s_add_u32 s20, s20, 8
	v_sub_co_ci_u32_e32 v5, vcc_lo, v11, v5, vcc_lo
	s_addc_u32 s21, s21, 0
	s_waitcnt lgkmcnt(0)
	s_delay_alu instid0(VALU_DEP_1)
	v_mul_lo_u32 v14, s2, v5
	v_mul_lo_u32 v15, s3, v13
	v_mad_u64_u32 v[9:10], null, s2, v13, v[6:7]
	v_mul_lo_u32 v5, s24, v5
	v_mul_lo_u32 v16, s25, v13
	v_mad_u64_u32 v[11:12], null, s24, v13, v[1:2]
	v_cmp_ge_u64_e64 s2, s[22:23], s[10:11]
	v_add3_u32 v7, v15, v10, v14
	s_delay_alu instid0(VALU_DEP_3) | instskip(NEXT) | instid1(VALU_DEP_4)
	v_dual_mov_b32 v6, v9 :: v_dual_mov_b32 v1, v11
	v_add3_u32 v2, v16, v12, v5
	s_delay_alu instid0(VALU_DEP_4)
	s_and_b32 vcc_lo, exec_lo, s2
	s_cbranch_vccnz .LBB0_9
; %bb.7:                                ;   in Loop: Header=BB0_2 Depth=1
	v_dual_mov_b32 v11, v4 :: v_dual_mov_b32 v10, v3
	s_branch .LBB0_2
.LBB0_8:
	v_dual_mov_b32 v1, v6 :: v_dual_mov_b32 v2, v7
	v_dual_mov_b32 v3, v10 :: v_dual_mov_b32 v4, v11
.LBB0_9:
	s_load_b64 s[0:1], s[0:1], 0x28
	v_mul_hi_u32 v8, 0x2302303, v0
	s_lshl_b64 s[10:11], s[10:11], 3
                                        ; implicit-def: $vgpr5
	s_delay_alu instid0(SALU_CYCLE_1) | instskip(SKIP_4) | instid1(VALU_DEP_1)
	s_add_u32 s2, s18, s10
	s_addc_u32 s3, s19, s11
	s_waitcnt lgkmcnt(0)
	v_cmp_gt_u64_e32 vcc_lo, s[0:1], v[3:4]
	v_cmp_le_u64_e64 s0, s[0:1], v[3:4]
	s_and_saveexec_b32 s1, s0
	s_delay_alu instid0(SALU_CYCLE_1)
	s_xor_b32 s0, exec_lo, s1
; %bb.10:
	v_mul_u32_u24_e32 v5, 0x75, v8
                                        ; implicit-def: $vgpr8
                                        ; implicit-def: $vgpr6_vgpr7
	s_delay_alu instid0(VALU_DEP_1)
	v_sub_nc_u32_e32 v5, v0, v5
                                        ; implicit-def: $vgpr0
; %bb.11:
	s_or_saveexec_b32 s1, s0
	s_load_b64 s[2:3], s[2:3], 0x0
	s_xor_b32 exec_lo, exec_lo, s1
	s_cbranch_execz .LBB0_15
; %bb.12:
	s_add_u32 s10, s16, s10
	s_addc_u32 s11, s17, s11
	v_lshlrev_b64 v[6:7], 2, v[6:7]
	s_load_b64 s[10:11], s[10:11], 0x0
	s_waitcnt lgkmcnt(0)
	v_mul_lo_u32 v5, s11, v3
	v_mul_lo_u32 v11, s10, v4
	v_mad_u64_u32 v[9:10], null, s10, v3, 0
	s_delay_alu instid0(VALU_DEP_1) | instskip(SKIP_1) | instid1(VALU_DEP_2)
	v_add3_u32 v10, v10, v11, v5
	v_mul_u32_u24_e32 v5, 0x75, v8
	v_lshlrev_b64 v[8:9], 2, v[9:10]
	s_delay_alu instid0(VALU_DEP_2) | instskip(NEXT) | instid1(VALU_DEP_1)
	v_sub_nc_u32_e32 v5, v0, v5
	v_lshlrev_b32_e32 v10, 2, v5
	s_delay_alu instid0(VALU_DEP_3) | instskip(NEXT) | instid1(VALU_DEP_1)
	v_add_co_u32 v0, s0, s4, v8
	v_add_co_ci_u32_e64 v8, s0, s5, v9, s0
	s_mov_b32 s4, exec_lo
	s_delay_alu instid0(VALU_DEP_2) | instskip(NEXT) | instid1(VALU_DEP_1)
	v_add_co_u32 v6, s0, v0, v6
	v_add_co_ci_u32_e64 v7, s0, v8, v7, s0
	s_delay_alu instid0(VALU_DEP_2) | instskip(NEXT) | instid1(VALU_DEP_1)
	v_add_co_u32 v8, s0, v6, v10
	v_add_co_ci_u32_e64 v9, s0, 0, v7, s0
	s_clause 0x5
	global_load_b32 v0, v[8:9], off
	global_load_b32 v11, v[8:9], off offset:468
	global_load_b32 v12, v[8:9], off offset:936
	;; [unrolled: 1-line block ×5, first 2 shown]
	v_add_nc_u32_e32 v9, 0, v10
	s_delay_alu instid0(VALU_DEP_1)
	v_add_nc_u32_e32 v10, 0x200, v9
	v_add_nc_u32_e32 v15, 0x600, v9
	s_waitcnt vmcnt(4)
	ds_store_2addr_b32 v9, v0, v11 offset1:117
	s_waitcnt vmcnt(2)
	ds_store_2addr_b32 v10, v12, v13 offset0:106 offset1:223
	s_waitcnt vmcnt(0)
	ds_store_2addr_b32 v15, v14, v8 offset0:84 offset1:201
	v_cmpx_eq_u32_e32 0x74, v5
	s_cbranch_execz .LBB0_14
; %bb.13:
	global_load_b32 v0, v[6:7], off offset:2808
	v_dual_mov_b32 v6, 0 :: v_dual_mov_b32 v5, 0x74
	s_waitcnt vmcnt(0)
	ds_store_b32 v6, v0 offset:2808
.LBB0_14:
	s_or_b32 exec_lo, exec_lo, s4
.LBB0_15:
	s_delay_alu instid0(SALU_CYCLE_1)
	s_or_b32 exec_lo, exec_lo, s1
	v_lshlrev_b32_e32 v6, 2, v5
	s_waitcnt lgkmcnt(0)
	s_barrier
	buffer_gl0_inv
	s_mov_b32 s1, exec_lo
	v_add_nc_u32_e32 v0, 0, v6
	v_sub_nc_u32_e32 v8, 0, v6
                                        ; implicit-def: $vgpr6_vgpr7
	ds_load_u16 v11, v0
	ds_load_u16 v12, v8 offset:2808
	s_waitcnt lgkmcnt(0)
	v_add_f16_e32 v10, v12, v11
	v_sub_f16_e32 v9, v11, v12
	v_cmpx_ne_u32_e32 0, v5
	s_xor_b32 s1, exec_lo, s1
	s_cbranch_execz .LBB0_17
; %bb.16:
	v_mov_b32_e32 v6, 0
	v_add_f16_e32 v13, v12, v11
	v_sub_f16_e32 v11, v11, v12
	s_delay_alu instid0(VALU_DEP_3) | instskip(NEXT) | instid1(VALU_DEP_1)
	v_lshlrev_b64 v[9:10], 2, v[5:6]
	v_add_co_u32 v9, s0, s8, v9
	s_delay_alu instid0(VALU_DEP_1)
	v_add_co_ci_u32_e64 v10, s0, s9, v10, s0
	global_load_b32 v7, v[9:10], off offset:2756
	ds_load_u16 v9, v8 offset:2810
	ds_load_u16 v10, v0 offset:2
	s_waitcnt lgkmcnt(0)
	v_add_f16_e32 v12, v9, v10
	v_sub_f16_e32 v9, v10, v9
	s_waitcnt vmcnt(0)
	v_lshrrev_b32_e32 v14, 16, v7
	s_delay_alu instid0(VALU_DEP_1) | instskip(NEXT) | instid1(VALU_DEP_3)
	v_fma_f16 v15, -v11, v14, v13
	v_fma_f16 v16, v12, v14, -v9
	v_fma_f16 v9, v12, v14, v9
	v_fma_f16 v10, v11, v14, v13
	s_delay_alu instid0(VALU_DEP_4) | instskip(NEXT) | instid1(VALU_DEP_4)
	v_fmac_f16_e32 v15, v7, v12
	v_fmac_f16_e32 v16, v11, v7
	s_delay_alu instid0(VALU_DEP_4) | instskip(NEXT) | instid1(VALU_DEP_4)
	v_fmac_f16_e32 v9, v11, v7
	v_fma_f16 v10, -v7, v12, v10
	v_mov_b32_e32 v7, v6
	v_mov_b32_e32 v6, v5
	v_pack_b32_f16 v11, v15, v16
	ds_store_b32 v8, v11 offset:2808
.LBB0_17:
	s_and_not1_saveexec_b32 s0, s1
	s_cbranch_execz .LBB0_19
; %bb.18:
	v_mov_b32_e32 v11, 0
	ds_load_b32 v6, v11 offset:1404
	s_waitcnt lgkmcnt(0)
	v_pk_mul_f16 v12, 0xc0004000, v6
	v_mov_b32_e32 v6, 0
	v_mov_b32_e32 v7, 0
	ds_store_b32 v11, v12 offset:1404
.LBB0_19:
	s_or_b32 exec_lo, exec_lo, s0
	v_lshlrev_b64 v[6:7], 2, v[6:7]
	s_add_u32 s0, s8, 0xac4
	s_addc_u32 s1, s9, 0
	v_add_nc_u32_e32 v18, 0x200, v0
	v_add_nc_u32_e32 v19, 0x800, v0
	s_delay_alu instid0(VALU_DEP_3) | instskip(NEXT) | instid1(VALU_DEP_1)
	v_add_co_u32 v6, s0, s0, v6
	v_add_co_ci_u32_e64 v7, s0, s1, v7, s0
	s_mov_b32 s1, exec_lo
	s_clause 0x1
	global_load_b32 v11, v[6:7], off offset:468
	global_load_b32 v6, v[6:7], off offset:936
	v_perm_b32 v7, v9, v10, 0x5040100
	ds_store_b32 v0, v7
	ds_load_b32 v7, v0 offset:468
	ds_load_b32 v9, v8 offset:2340
	s_waitcnt lgkmcnt(1)
	v_lshrrev_b32_e32 v10, 16, v7
	s_waitcnt lgkmcnt(0)
	v_lshrrev_b32_e32 v12, 16, v9
	v_add_f16_e32 v13, v7, v9
	v_sub_f16_e32 v7, v7, v9
	s_delay_alu instid0(VALU_DEP_3) | instskip(SKIP_3) | instid1(VALU_DEP_1)
	v_add_f16_e32 v9, v12, v10
	v_sub_f16_e32 v10, v10, v12
	s_waitcnt vmcnt(1)
	v_lshrrev_b32_e32 v14, 16, v11
	v_fma_f16 v12, v7, v14, v13
	s_delay_alu instid0(VALU_DEP_3) | instskip(SKIP_2) | instid1(VALU_DEP_4)
	v_fma_f16 v15, v9, v14, v10
	v_fma_f16 v13, -v7, v14, v13
	v_fma_f16 v10, v9, v14, -v10
	v_fma_f16 v12, -v11, v9, v12
	s_delay_alu instid0(VALU_DEP_4) | instskip(NEXT) | instid1(VALU_DEP_4)
	v_fmac_f16_e32 v15, v7, v11
	v_fmac_f16_e32 v13, v11, v9
	s_delay_alu instid0(VALU_DEP_4) | instskip(NEXT) | instid1(VALU_DEP_3)
	v_fmac_f16_e32 v10, v7, v11
	v_pack_b32_f16 v7, v12, v15
	s_waitcnt vmcnt(0)
	v_lshrrev_b32_e32 v12, 16, v6
	s_delay_alu instid0(VALU_DEP_3)
	v_pack_b32_f16 v9, v13, v10
	ds_store_b32 v0, v7 offset:468
	ds_store_b32 v8, v9 offset:2340
	ds_load_b32 v7, v0 offset:936
	ds_load_b32 v9, v8 offset:1872
	s_waitcnt lgkmcnt(1)
	v_lshrrev_b32_e32 v10, 16, v7
	s_waitcnt lgkmcnt(0)
	v_lshrrev_b32_e32 v11, 16, v9
	v_add_f16_e32 v13, v7, v9
	v_sub_f16_e32 v7, v7, v9
	s_delay_alu instid0(VALU_DEP_3) | instskip(SKIP_1) | instid1(VALU_DEP_3)
	v_add_f16_e32 v9, v11, v10
	v_sub_f16_e32 v10, v10, v11
	v_fma_f16 v11, v7, v12, v13
	v_fma_f16 v13, -v7, v12, v13
	s_delay_alu instid0(VALU_DEP_3) | instskip(SKIP_1) | instid1(VALU_DEP_4)
	v_fma_f16 v14, v9, v12, v10
	v_fma_f16 v10, v9, v12, -v10
	v_fma_f16 v11, -v6, v9, v11
	s_delay_alu instid0(VALU_DEP_4) | instskip(SKIP_3) | instid1(VALU_DEP_2)
	v_fmac_f16_e32 v13, v6, v9
	v_add_nc_u32_e32 v9, 0x400, v0
	v_fmac_f16_e32 v14, v7, v6
	v_fmac_f16_e32 v10, v7, v6
	v_pack_b32_f16 v6, v11, v14
	s_delay_alu instid0(VALU_DEP_2)
	v_pack_b32_f16 v7, v13, v10
	ds_store_b32 v0, v6 offset:936
	ds_store_b32 v8, v7 offset:1872
	s_waitcnt lgkmcnt(0)
	s_barrier
	buffer_gl0_inv
	s_barrier
	buffer_gl0_inv
	ds_load_2addr_b32 v[6:7], v0 offset1:54
	ds_load_2addr_b32 v[16:17], v0 offset0:108 offset1:162
	ds_load_2addr_b32 v[14:15], v18 offset0:88 offset1:142
	;; [unrolled: 1-line block ×5, first 2 shown]
	ds_load_b32 v31, v0 offset:2592
	s_waitcnt lgkmcnt(0)
	s_barrier
	buffer_gl0_inv
	v_cmpx_gt_u32_e32 54, v5
	s_cbranch_execz .LBB0_21
; %bb.20:
	v_pk_add_f16 v19, v6, v7
	v_pk_add_f16 v24, v7, v31 neg_lo:[0,1] neg_hi:[0,1]
	v_pk_add_f16 v27, v31, v7
	v_pk_add_f16 v22, v16, v9 neg_lo:[0,1] neg_hi:[0,1]
	v_pk_add_f16 v26, v9, v16
	v_pk_add_f16 v7, v19, v16
	v_pk_add_f16 v16, v15, v10 neg_lo:[0,1] neg_hi:[0,1]
	v_pk_add_f16 v21, v10, v15
	v_pk_add_f16 v20, v17, v8 neg_lo:[0,1] neg_hi:[0,1]
	v_pk_add_f16 v25, v8, v17
	v_pk_add_f16 v28, v7, v17
	v_pk_add_f16 v7, v12, v13 neg_lo:[0,1] neg_hi:[0,1]
	v_pk_add_f16 v17, v13, v12
	v_mul_f16_e32 v32, 0xb94e, v24
	v_lshrrev_b32_e32 v33, 16, v27
	v_pk_add_f16 v28, v28, v14
	v_pk_add_f16 v19, v14, v11 neg_lo:[0,1] neg_hi:[0,1]
	v_pk_add_f16 v23, v11, v14
	v_lshrrev_b32_e32 v14, 16, v6
	v_mul_f16_e32 v34, 0x3bf1, v22
	v_pk_add_f16 v15, v28, v15
	v_lshrrev_b32_e32 v30, 16, v26
	v_fmamk_f16 v38, v33, 0xb9fd, v32
	v_mul_f16_e32 v35, 0xba95, v20
	v_lshrrev_b32_e32 v29, 16, v25
	v_pk_add_f16 v12, v15, v12
	v_fmamk_f16 v40, v30, 0x2fb7, v34
	v_add_f16_e32 v38, v14, v38
	v_mul_f16_e32 v36, 0x33a8, v19
	v_lshrrev_b32_e32 v28, 16, v23
	v_pk_add_f16 v13, v12, v13
	v_lshrrev_b32_e32 v41, 16, v22
	v_fmamk_f16 v42, v29, 0x388b, v35
	v_add_f16_e32 v38, v40, v38
	v_mul_f16_e32 v37, 0x3770, v16
	v_pk_add_f16 v10, v13, v10
	v_lshrrev_b32_e32 v13, 16, v24
	v_lshrrev_b32_e32 v15, 16, v21
	;; [unrolled: 1-line block ×3, first 2 shown]
	v_add_f16_e32 v38, v42, v38
	v_pk_add_f16 v10, v10, v11
	v_mul_f16_e32 v43, 0xb94e, v13
	v_fmamk_f16 v11, v28, 0xbbc4, v36
	v_mul_f16_e32 v42, 0x3bf1, v41
	v_mul_f16_e32 v39, 0xbb7b, v7
	v_pk_add_f16 v8, v10, v8
	v_fma_f16 v44, v27, 0xb9fd, -v43
	v_lshrrev_b32_e32 v12, 16, v17
	v_fmamk_f16 v10, v15, 0x3b15, v37
	v_add_f16_e32 v11, v11, v38
	v_pk_add_f16 v8, v8, v9
	v_mul_f16_e32 v38, 0xba95, v40
	v_fma_f16 v9, v26, 0x2fb7, -v42
	v_add_f16_e32 v44, v6, v44
	v_add_f16_e32 v10, v10, v11
	v_pk_add_f16 v8, v8, v31
	v_lshrrev_b32_e32 v31, 16, v19
	v_fmamk_f16 v11, v12, 0xb5ac, v39
	v_add_f16_e32 v44, v9, v44
	v_fma_f16 v45, v25, 0x388b, -v38
	v_mul_f16_e32 v46, 0xbb7b, v24
	v_mul_f16_e32 v47, 0x33a8, v31
	v_lshrrev_b32_e32 v48, 16, v16
	v_add_f16_e32 v9, v11, v10
	v_add_f16_e32 v10, v45, v44
	v_fmamk_f16 v11, v33, 0xb5ac, v46
	v_mul_f16_e32 v44, 0x394e, v22
	v_fma_f16 v45, v23, 0xbbc4, -v47
	v_mul_f16_e32 v49, 0x3770, v48
	v_lshrrev_b32_e32 v50, 16, v7
	v_add_f16_e32 v11, v14, v11
	v_fmamk_f16 v51, v30, 0xb9fd, v44
	v_mul_f16_e32 v52, 0x3770, v20
	v_add_f16_e32 v10, v45, v10
	v_fma_f16 v45, v21, 0x3b15, -v49
	v_mul_f16_e32 v53, 0xbb7b, v50
	v_add_f16_e32 v11, v51, v11
	v_fmamk_f16 v51, v29, 0x3b15, v52
	v_mul_f16_e32 v54, 0xbbf1, v19
	v_add_f16_e32 v10, v45, v10
	v_fma_f16 v45, v17, 0xb5ac, -v53
	v_mul_f16_e32 v55, 0xbb7b, v13
	v_add_f16_e32 v11, v51, v11
	v_fmamk_f16 v51, v28, 0x2fb7, v54
	v_mul_f16_e32 v56, 0x33a8, v16
	v_add_f16_e32 v10, v45, v10
	v_fma_f16 v45, v27, 0xb5ac, -v55
	v_mul_f16_e32 v57, 0x394e, v41
	v_fma_f16 v32, v33, 0xb9fd, -v32
	v_add_f16_e32 v11, v51, v11
	v_fmamk_f16 v51, v15, 0xbbc4, v56
	v_mul_f16_e32 v58, 0x3a95, v7
	v_add_f16_e32 v45, v6, v45
	v_fma_f16 v59, v26, 0xb9fd, -v57
	v_mul_f16_e32 v60, 0x3770, v40
	v_add_f16_e32 v32, v14, v32
	v_fma_f16 v34, v30, 0x2fb7, -v34
	v_add_f16_e32 v11, v51, v11
	v_fmamk_f16 v51, v12, 0x388b, v58
	v_mul_f16_e32 v61, 0xbbf1, v24
	v_add_f16_e32 v45, v59, v45
	v_fma_f16 v59, v25, 0x3b15, -v60
	v_mul_f16_e32 v62, 0xbbf1, v31
	v_add_f16_e32 v32, v34, v32
	;; [unrolled: 8-line block ×3, first 2 shown]
	v_fma_f16 v34, v28, 0xbbc4, -v36
	v_fma_f16 v36, v33, 0xb5ac, -v46
	v_add_f16_e32 v51, v14, v51
	v_fmamk_f16 v65, v30, 0xbbc4, v63
	v_mul_f16_e32 v66, 0x3b7b, v20
	v_add_f16_e32 v45, v59, v45
	v_fma_f16 v59, v21, 0xbbc4, -v64
	v_mul_f16_e32 v67, 0x3a95, v50
	v_add_f16_e32 v36, v14, v36
	v_fma_f16 v44, v30, 0xb9fd, -v44
	v_add_f16_e32 v51, v65, v51
	v_fmamk_f16 v65, v29, 0xb5ac, v66
	v_mul_f16_e32 v68, 0x3770, v19
	v_add_f16_e32 v45, v59, v45
	v_fma_f16 v59, v17, 0x388b, -v67
	v_mul_f16_e32 v69, 0xbbf1, v13
	v_add_f16_e32 v32, v34, v32
	v_fma_f16 v37, v15, 0x3b15, -v37
	v_add_f16_e32 v36, v44, v36
	v_fma_f16 v46, v29, 0x3b15, -v52
	v_add_f16_e32 v51, v65, v51
	v_fmamk_f16 v65, v28, 0x3b15, v68
	v_mul_f16_e32 v70, 0xba95, v16
	v_add_f16_e32 v45, v59, v45
	v_fma_f16 v59, v27, 0x2fb7, -v69
	v_mul_f16_e32 v71, 0xb3a8, v41
	v_add_f16_e32 v32, v37, v32
	v_fma_f16 v37, v12, 0xb5ac, -v39
	v_add_f16_e32 v36, v46, v36
	v_fma_f16 v39, v28, 0x2fb7, -v54
	v_add_f16_e32 v51, v65, v51
	v_fmamk_f16 v65, v15, 0x388b, v70
	v_mul_f16_e32 v72, 0xb9fd, v12
	v_add_f16_e32 v59, v6, v59
	v_fma_f16 v73, v26, 0xbbc4, -v71
	v_mul_f16_e32 v74, 0x3b7b, v40
	v_add_f16_e32 v32, v37, v32
	v_add_f16_e32 v36, v39, v36
	v_fma_f16 v37, v15, 0xbbc4, -v56
	v_add_f16_e32 v51, v65, v51
	v_fmamk_f16 v65, v7, 0xb94e, v72
	v_mul_f16_e32 v75, 0xba95, v24
	v_add_f16_e32 v59, v73, v59
	v_fma_f16 v73, v25, 0xb5ac, -v74
	v_mul_f16_e32 v76, 0x3770, v31
	v_add_f16_e32 v36, v37, v36
	v_fma_f16 v37, v12, 0x388b, -v58
	v_add_f16_e32 v51, v65, v51
	v_fmamk_f16 v65, v33, 0x388b, v75
	v_mul_f16_e32 v77, 0xbb7b, v22
	v_add_f16_e32 v59, v73, v59
	v_fma_f16 v73, v23, 0x3b15, -v76
	v_mul_f16_e32 v78, 0xba95, v48
	v_add_f16_e32 v36, v37, v36
	v_fma_f16 v37, v33, 0x2fb7, -v61
	v_fma_f16 v33, v33, 0x388b, -v75
	v_add_f16_e32 v65, v14, v65
	v_fmamk_f16 v79, v30, 0xb5ac, v77
	v_mul_f16_e32 v80, 0xb3a8, v20
	v_add_f16_e32 v59, v73, v59
	v_fma_f16 v73, v21, 0x388b, -v78
	v_mul_f16_e32 v81, 0xb94e, v50
	v_add_f16_e32 v37, v14, v37
	v_fma_f16 v46, v30, 0xbbc4, -v63
	v_add_f16_e32 v33, v14, v33
	v_fma_f16 v30, v30, 0xb5ac, -v77
	v_add_f16_e32 v65, v79, v65
	v_fmamk_f16 v79, v29, 0xbbc4, v80
	v_mul_f16_e32 v82, 0x394e, v19
	v_pk_mul_f16 v83, 0x3b15388b, v27
	v_add_f16_e32 v59, v73, v59
	v_fma_f16 v73, v17, 0xb9fd, -v81
	v_add_f16_e32 v37, v46, v37
	v_fma_f16 v46, v29, 0xb5ac, -v66
	;; [unrolled: 2-line block ×3, first 2 shown]
	v_add_f16_e32 v65, v79, v65
	v_fmamk_f16 v79, v28, 0xb9fd, v82
	v_pk_fma_f16 v84, 0xba95b770, v24, v83 op_sel:[0,0,1] op_sel_hi:[1,1,0]
	v_pk_mul_f16 v85, 0x388bb5ac, v26
	v_add_f16_e32 v59, v73, v59
	v_mul_f16_e32 v73, 0x3bf1, v16
	v_add_f16_e32 v37, v46, v37
	v_fma_f16 v46, v28, 0x3b15, -v68
	v_add_f16_e32 v29, v29, v30
	v_fma_f16 v28, v28, 0xb9fd, -v82
	v_add_f16_e32 v65, v79, v65
	v_pk_fma_f16 v86, 0xbb7bba95, v22, v85 op_sel:[0,0,1] op_sel_hi:[1,1,0]
	v_pk_mul_f16 v87, 0x2fb7bbc4, v25
	v_fmamk_f16 v88, v15, 0x2fb7, v73
	v_mul_f16_e32 v89, 0x3770, v7
	v_fma_f16 v33, v15, 0x388b, -v70
	v_pk_add_f16 v30, v6, v84 op_sel:[1,0] op_sel_hi:[0,1]
	v_add_f16_e32 v28, v28, v29
	v_fma_f16 v15, v15, 0x2fb7, -v73
	v_pk_fma_f16 v91, 0xb3a8bbf1, v20, v87 op_sel:[0,0,1] op_sel_hi:[1,1,0]
	v_pk_mul_f16 v92, 0xb5acb9fd, v23
	v_add_f16_e32 v65, v88, v65
	v_fmamk_f16 v88, v12, 0x3b15, v89
	v_mul_f16_e32 v13, 0xb770, v13
	v_fmac_f16_e32 v43, 0xb9fd, v27
	v_pk_add_f16 v29, v86, v30
	v_add_f16_e32 v15, v15, v28
	v_fma_f16 v12, v12, 0x3b15, -v89
	v_pk_fma_f16 v83, 0xba95b770, v24, v83 op_sel:[0,0,1] op_sel_hi:[1,1,0] neg_lo:[0,1,0] neg_hi:[0,1,0]
	v_pk_fma_f16 v93, 0x394ebb7b, v19, v92 op_sel:[0,0,1] op_sel_hi:[1,1,0]
	v_add_f16_e32 v65, v88, v65
	v_fma_f16 v88, v27, 0x3b15, -v13
	v_mul_f16_e32 v41, 0xba95, v41
	v_add_f16_e32 v43, v6, v43
	v_fmac_f16_e32 v42, 0x2fb7, v26
	v_pk_add_f16 v28, v91, v29
	v_add_f16_e32 v12, v12, v15
	v_pk_mul_f16 v15, 0xbbc4, v27 op_sel_hi:[0,1]
	v_bfi_b32 v79, 0xffff, v84, v83
	v_pk_fma_f16 v85, 0xbb7bba95, v22, v85 op_sel:[0,0,1] op_sel_hi:[1,1,0] neg_lo:[0,1,0] neg_hi:[0,1,0]
	v_add_f16_e32 v88, v6, v88
	v_fma_f16 v96, v26, 0x388b, -v41
	v_mul_f16_e32 v40, 0xbbf1, v40
	v_add_f16_e32 v42, v42, v43
	v_fmac_f16_e32 v38, 0x388b, v25
	v_fmac_f16_e32 v55, 0xb5ac, v27
	;; [unrolled: 1-line block ×7, first 2 shown]
	v_pk_add_f16 v27, v93, v28
	v_pk_fma_f16 v28, 0xb3a8, v24, v15 op_sel:[0,0,1] op_sel_hi:[0,1,0] neg_lo:[0,1,0] neg_hi:[0,1,0]
	v_pk_mul_f16 v26, 0x3b15, v26 op_sel_hi:[0,1]
	v_pk_fma_f16 v15, 0xb3a8, v24, v15 op_sel:[0,0,1] op_sel_hi:[0,1,0]
	v_pk_add_f16 v79, v6, v79 op_sel:[1,0] op_sel_hi:[0,1]
	v_bfi_b32 v90, 0xffff, v86, v85
	v_pk_fma_f16 v87, 0xb3a8bbf1, v20, v87 op_sel:[0,0,1] op_sel_hi:[1,1,0] neg_lo:[0,1,0] neg_hi:[0,1,0]
	v_add_f16_e32 v88, v96, v88
	v_fma_f16 v96, v25, 0x2fb7, -v40
	v_mul_f16_e32 v31, 0xbb7b, v31
	v_add_f16_e32 v38, v38, v42
	v_add_f16_e32 v39, v6, v55
	v_fmac_f16_e32 v60, 0x3b15, v25
	v_add_f16_e32 v42, v6, v69
	v_fmac_f16_e32 v74, 0xb5ac, v25
	;; [unrolled: 2-line block ×3, first 2 shown]
	v_pk_add_f16 v24, v6, v28 op_sel:[1,0] op_sel_hi:[0,1]
	v_pk_fma_f16 v28, 0x3770, v22, v26 op_sel:[0,0,1] op_sel_hi:[0,1,0] neg_lo:[0,1,0] neg_hi:[0,1,0]
	v_pk_mul_f16 v25, 0xb9fd, v25 op_sel_hi:[0,1]
	v_pk_add_f16 v6, v6, v15 op_sel:[1,0] op_sel_hi:[0,1]
	v_pk_fma_f16 v15, 0x3770, v22, v26 op_sel:[0,0,1] op_sel_hi:[0,1,0]
	v_pk_add_f16 v79, v90, v79
	v_bfi_b32 v90, 0xffff, v91, v87
	v_pk_fma_f16 v92, 0x394ebb7b, v19, v92 op_sel:[0,0,1] op_sel_hi:[1,1,0] neg_lo:[0,1,0] neg_hi:[0,1,0]
	v_pk_mul_f16 v94, 0xb9fd2fb7, v21
	v_add_f16_e32 v88, v96, v88
	v_fma_f16 v96, v23, 0xb5ac, -v31
	v_mul_f16_e32 v48, 0xb94e, v48
	v_fmac_f16_e32 v47, 0xbbc4, v23
	v_fmac_f16_e32 v62, 0x2fb7, v23
	;; [unrolled: 1-line block ×4, first 2 shown]
	v_pk_add_f16 v22, v28, v24
	v_pk_fma_f16 v24, 0xb94e, v20, v25 op_sel:[0,0,1] op_sel_hi:[0,1,0] neg_lo:[0,1,0] neg_hi:[0,1,0]
	v_pk_mul_f16 v23, 0x388b, v23 op_sel_hi:[0,1]
	v_pk_add_f16 v6, v15, v6
	v_pk_fma_f16 v15, 0xb94e, v20, v25 op_sel:[0,0,1] op_sel_hi:[0,1,0]
	v_pk_add_f16 v79, v90, v79
	v_bfi_b32 v90, 0xffff, v93, v92
	v_pk_fma_f16 v95, 0x3bf1b94e, v16, v94 op_sel:[0,0,1] op_sel_hi:[1,1,0]
	v_pk_fma_f16 v94, 0x3bf1b94e, v16, v94 op_sel:[0,0,1] op_sel_hi:[1,1,0] neg_lo:[0,1,0] neg_hi:[0,1,0]
	v_add_f16_e32 v14, v14, v83
	v_add_f16_e32 v39, v57, v39
	;; [unrolled: 1-line block ×3, first 2 shown]
	v_fma_f16 v96, v21, 0xb9fd, -v48
	v_mul_f16_e32 v43, 0xb94e, v7
	v_fmac_f16_e32 v49, 0x3b15, v21
	v_add_f16_e32 v42, v71, v42
	v_fmac_f16_e32 v64, 0xbbc4, v21
	v_fmac_f16_e32 v78, 0x388b, v21
	;; [unrolled: 1-line block ×3, first 2 shown]
	v_pk_add_f16 v20, v24, v22
	v_pk_fma_f16 v22, 0x3a95, v19, v23 op_sel:[0,0,1] op_sel_hi:[0,1,0] neg_lo:[0,1,0] neg_hi:[0,1,0]
	v_pk_mul_f16 v21, 0xb5ac, v21 op_sel_hi:[0,1]
	v_pk_add_f16 v6, v15, v6
	v_pk_fma_f16 v15, 0x3a95, v19, v23 op_sel:[0,0,1] op_sel_hi:[0,1,0]
	v_pk_add_f16 v79, v90, v79
	v_bfi_b32 v90, 0xffff, v95, v94
	v_pk_mul_f16 v97, 0xbbc43b15, v17
	v_add_f16_e32 v14, v85, v14
	v_add_f16_e32 v13, v41, v13
	v_mul_f16_e32 v50, 0xb3a8, v50
	v_add_f16_e32 v39, v60, v39
	v_pk_mul_f16 v44, 0x3770b3a8, v7
	v_add_f16_e32 v42, v74, v42
	v_add_f16_e32 v37, v46, v37
	v_pk_add_f16 v20, v22, v20
	v_pk_fma_f16 v22, 0xbb7b, v16, v21 op_sel:[0,0,1] op_sel_hi:[0,1,0] neg_lo:[0,1,0] neg_hi:[0,1,0]
	v_pk_add_f16 v6, v15, v6
	v_pk_fma_f16 v15, 0xbb7b, v16, v21 op_sel:[0,0,1] op_sel_hi:[0,1,0]
	v_bfi_b32 v16, 0xffff, v43, v27
	v_pk_add_f16 v79, v90, v79
	v_pk_fma_f16 v90, 0x3770b3a8, v7, v97 op_sel:[0,0,1] op_sel_hi:[1,1,0]
	v_pk_fma_f16 v98, 0x3770b3a8, v7, v97 op_sel:[0,0,1] op_sel_hi:[1,1,0] neg_lo:[0,1,0] neg_hi:[0,1,0]
	v_add_f16_e32 v14, v87, v14
	v_add_f16_e32 v13, v40, v13
	;; [unrolled: 1-line block ×3, first 2 shown]
	v_fma_f16 v88, v17, 0xbbc4, -v50
	v_fmac_f16_e32 v53, 0xb5ac, v17
	v_fmac_f16_e32 v67, 0x388b, v17
	;; [unrolled: 1-line block ×4, first 2 shown]
	v_pk_mul_f16 v17, 0x2fb7, v17 op_sel_hi:[0,1]
	v_add_f16_e32 v38, v47, v38
	v_add_f16_e32 v39, v62, v39
	;; [unrolled: 1-line block ×3, first 2 shown]
	v_pk_add_f16 v6, v15, v6
	v_pk_add_f16 v15, v72, v16 neg_lo:[0,1] neg_hi:[0,1]
	v_pk_add_f16 v16, v95, v27
	v_pack_b32_f16 v23, v33, v97
	v_bfi_b32 v24, 0xffff, v37, v44
	v_bfi_b32 v90, 0xffff, v90, v98
	v_add_f16_e32 v14, v92, v14
	v_add_f16_e32 v13, v31, v13
	v_pk_add_f16 v20, v22, v20
	v_pk_fma_f16 v22, 0x3bf1, v7, v17 op_sel:[0,0,1] op_sel_hi:[0,1,0] neg_lo:[0,1,0] neg_hi:[0,1,0]
	v_pk_fma_f16 v7, 0x3bf1, v7, v17 op_sel:[0,0,1] op_sel_hi:[0,1,0]
	v_add_f16_e32 v38, v49, v38
	v_add_f16_e32 v39, v64, v39
	v_mad_u32_u24 v34, v5, 48, v0
	v_add_f16_e32 v42, v78, v42
	v_pack_b32_f16 v9, v10, v9
	v_bfi_b32 v15, 0xffff, v15, v16
	v_pk_add_f16 v16, v23, v24
	v_pk_add_f16 v79, v90, v79
	v_add_f16_e32 v35, v88, v35
	v_add_f16_e32 v14, v94, v14
	;; [unrolled: 1-line block ×3, first 2 shown]
	v_pk_add_f16 v10, v22, v20
	v_pk_add_f16 v6, v7, v6
	v_add_f16_e32 v38, v53, v38
	v_add_f16_e32 v39, v67, v39
	v_add_f16_e32 v42, v81, v42
	ds_store_2addr_b32 v34, v8, v9 offset1:5
	v_pk_add_f16 v8, v15, v16
	v_add_f16_e32 v14, v98, v14
	v_add_f16_e32 v13, v50, v13
	v_alignbit_b32 v19, v65, v79, 16
	v_pack_b32_f16 v21, v35, v79
	v_pack_b32_f16 v7, v45, v11
	v_pack_b32_f16 v11, v59, v51
	v_alignbit_b32 v9, v10, v6, 16
	v_alignbit_b32 v6, v6, v10, 16
	v_pack_b32_f16 v10, v39, v36
	v_pack_b32_f16 v15, v38, v32
	v_alignbit_b32 v12, v12, v8, 16
	v_pack_b32_f16 v8, v42, v8
	v_pack_b32_f16 v13, v13, v14
	ds_store_2addr_b32 v34, v21, v19 offset0:1 offset1:2
	ds_store_2addr_b32 v34, v11, v7 offset0:3 offset1:4
	;; [unrolled: 1-line block ×5, first 2 shown]
	ds_store_b32 v34, v13 offset:48
.LBB0_21:
	s_or_b32 exec_lo, exec_lo, s1
	v_and_b32_e32 v10, 0xff, v5
	v_add_nc_u32_e32 v17, 0x75, v5
	s_waitcnt lgkmcnt(0)
	s_barrier
	buffer_gl0_inv
	v_mul_lo_u16 v6, 0x4f, v10
	v_and_b32_e32 v7, 0xff, v17
	v_mul_lo_u16 v10, 0xa5, v10
	v_add_nc_u32_e32 v23, 0x600, v0
	s_delay_alu instid0(VALU_DEP_4) | instskip(NEXT) | instid1(VALU_DEP_4)
	v_lshrrev_b16 v16, 10, v6
	v_mul_lo_u16 v6, 0x4f, v7
	s_delay_alu instid0(VALU_DEP_4)
	v_lshrrev_b16 v22, 8, v10
	ds_load_2addr_b32 v[10:11], v0 offset1:117
	v_mul_lo_u16 v7, v16, 13
	v_lshrrev_b16 v19, 10, v6
	v_sub_nc_u16 v12, v5, v22
	v_and_b32_e32 v16, 0xffff, v16
	s_delay_alu instid0(VALU_DEP_4) | instskip(NEXT) | instid1(VALU_DEP_4)
	v_sub_nc_u16 v6, v5, v7
	v_mul_lo_u16 v7, v19, 13
	s_delay_alu instid0(VALU_DEP_4)
	v_lshrrev_b16 v14, 1, v12
	ds_load_2addr_b32 v[12:13], v18 offset0:106 offset1:223
	v_mul_u32_u24_e32 v16, 0x9c, v16
	v_and_b32_e32 v20, 0xff, v6
	v_sub_nc_u16 v6, v17, v7
	v_and_b32_e32 v24, 0x7f, v14
	ds_load_2addr_b32 v[14:15], v23 offset0:84 offset1:201
	v_and_b32_e32 v19, 0xffff, v19
	v_lshlrev_b32_e32 v7, 3, v20
	v_and_b32_e32 v21, 0xff, v6
	v_add_nc_u16 v22, v24, v22
	ds_load_u16 v24, v0 offset:2
	v_lshlrev_b32_e32 v20, 2, v20
	global_load_b64 v[6:7], v7, s[8:9]
	v_lshlrev_b32_e32 v8, 3, v21
	v_lshrrev_b16 v22, 5, v22
	s_waitcnt lgkmcnt(3)
	v_lshrrev_b32_e32 v25, 16, v11
	v_add3_u32 v16, 0, v16, v20
	v_lshlrev_b32_e32 v20, 2, v21
	global_load_b64 v[8:9], v8, s[8:9]
	v_and_b32_e32 v26, 7, v22
	s_waitcnt lgkmcnt(2)
	v_lshrrev_b32_e32 v22, 16, v12
	v_lshrrev_b32_e32 v27, 16, v13
	v_mul_u32_u24_e32 v19, 0x9c, v19
	s_waitcnt vmcnt(0) lgkmcnt(0)
	v_mul_lo_u16 v28, v26, 39
	v_lshrrev_b32_e32 v29, 16, v14
	v_lshrrev_b32_e32 v30, 16, v15
	v_add3_u32 v19, 0, v19, v20
	s_barrier
	v_sub_nc_u16 v28, v5, v28
	buffer_gl0_inv
	v_and_b32_e32 v28, 0xff, v28
	s_delay_alu instid0(VALU_DEP_1) | instskip(SKIP_2) | instid1(VALU_DEP_2)
	v_mul_u32_u24_e32 v20, 5, v28
	v_lshrrev_b32_e32 v21, 16, v6
	v_lshrrev_b32_e32 v31, 16, v7
	v_mul_f16_e32 v32, v21, v22
	v_mul_f16_e32 v21, v21, v12
	s_delay_alu instid0(VALU_DEP_3)
	v_mul_f16_e32 v33, v31, v29
	v_mul_f16_e32 v31, v31, v14
	v_lshrrev_b32_e32 v34, 16, v8
	v_lshrrev_b32_e32 v35, 16, v9
	v_fma_f16 v12, v6, v12, -v32
	v_fmac_f16_e32 v21, v6, v22
	v_fma_f16 v6, v7, v14, -v33
	v_mul_f16_e32 v14, v34, v27
	v_mul_f16_e32 v22, v34, v13
	;; [unrolled: 1-line block ×4, first 2 shown]
	v_fmac_f16_e32 v31, v7, v29
	v_fma_f16 v7, v8, v13, -v14
	v_fmac_f16_e32 v22, v8, v27
	v_fma_f16 v8, v9, v15, -v32
	v_fmac_f16_e32 v33, v9, v30
	v_add_f16_e32 v9, v12, v10
	v_add_f16_e32 v13, v12, v6
	v_sub_f16_e32 v14, v21, v31
	v_add_f16_e32 v15, v24, v21
	v_add_f16_e32 v21, v21, v31
	v_sub_f16_e32 v12, v12, v6
	v_add_f16_e32 v6, v9, v6
	v_fma_f16 v9, -0.5, v13, v10
	v_add_f16_e32 v10, v15, v31
	v_fmac_f16_e32 v24, -0.5, v21
	v_add_f16_e32 v15, v7, v8
	v_sub_f16_e32 v21, v22, v33
	v_add_f16_e32 v27, v25, v22
	v_add_f16_e32 v22, v22, v33
	;; [unrolled: 1-line block ×3, first 2 shown]
	v_sub_f16_e32 v7, v7, v8
	v_fmac_f16_e32 v11, -0.5, v15
	v_fmamk_f16 v29, v14, 0x3aee, v9
	v_fmac_f16_e32 v25, -0.5, v22
	v_fmac_f16_e32 v9, 0xbaee, v14
	v_fmamk_f16 v14, v12, 0xbaee, v24
	v_add_f16_e32 v8, v13, v8
	v_pack_b32_f16 v6, v6, v10
	v_fmamk_f16 v10, v21, 0x3aee, v11
	v_fmamk_f16 v13, v7, 0xbaee, v25
	v_fmac_f16_e32 v24, 0x3aee, v12
	v_add_f16_e32 v12, v27, v33
	v_fmac_f16_e32 v11, 0xbaee, v21
	v_fmac_f16_e32 v25, 0x3aee, v7
	v_pack_b32_f16 v7, v29, v14
	v_pack_b32_f16 v10, v10, v13
	v_lshlrev_b32_e32 v13, 2, v20
	v_pack_b32_f16 v9, v9, v24
	v_pack_b32_f16 v8, v8, v12
	;; [unrolled: 1-line block ×3, first 2 shown]
	ds_store_2addr_b32 v16, v6, v7 offset1:13
	ds_store_b32 v16, v9 offset:104
	ds_store_2addr_b32 v19, v8, v10 offset1:13
	ds_store_b32 v19, v11 offset:104
	s_waitcnt lgkmcnt(0)
	s_barrier
	buffer_gl0_inv
	s_clause 0x1
	global_load_b128 v[9:12], v13, s[8:9] offset:104
	global_load_b32 v24, v13, s[8:9] offset:120
	ds_load_2addr_b32 v[15:16], v0 offset1:117
	ds_load_2addr_b32 v[19:20], v18 offset0:106 offset1:223
	ds_load_2addr_b32 v[21:22], v23 offset0:84 offset1:201
	v_dual_mov_b32 v8, 0 :: v_dual_lshlrev_b32 v7, 1, v5
	v_lshlrev_b32_e32 v25, 2, v28
	s_waitcnt vmcnt(0) lgkmcnt(0)
	s_barrier
	buffer_gl0_inv
	v_lshlrev_b64 v[13:14], 2, v[7:8]
	v_lshlrev_b32_e32 v7, 1, v17
	v_and_b32_e32 v17, 0xffff, v26
	s_delay_alu instid0(VALU_DEP_2) | instskip(NEXT) | instid1(VALU_DEP_2)
	v_lshlrev_b64 v[6:7], 2, v[7:8]
	v_mul_u32_u24_e32 v17, 0x3a8, v17
	v_add_co_u32 v13, s0, s8, v13
	s_delay_alu instid0(VALU_DEP_1)
	v_add_co_ci_u32_e64 v14, s0, s9, v14, s0
	v_lshrrev_b32_e32 v26, 16, v16
	v_lshrrev_b32_e32 v27, 16, v19
	;; [unrolled: 1-line block ×5, first 2 shown]
	v_add3_u32 v17, 0, v17, v25
	v_lshrrev_b32_e32 v25, 16, v15
	v_add_co_u32 v6, s0, s8, v6
	s_delay_alu instid0(VALU_DEP_1)
	v_add_co_ci_u32_e64 v7, s0, s9, v7, s0
	v_lshrrev_b32_e32 v31, 16, v9
	v_lshrrev_b32_e32 v32, 16, v10
	;; [unrolled: 1-line block ×5, first 2 shown]
	v_mul_f16_e32 v36, v31, v26
	v_mul_f16_e32 v31, v31, v16
	v_mul_f16_e32 v37, v32, v27
	v_mul_f16_e32 v32, v32, v19
	v_mul_f16_e32 v38, v33, v28
	v_mul_f16_e32 v33, v33, v20
	v_mul_f16_e32 v39, v34, v29
	v_mul_f16_e32 v34, v34, v21
	v_mul_f16_e32 v40, v35, v30
	v_mul_f16_e32 v35, v35, v22
	v_fma_f16 v16, v9, v16, -v36
	v_fmac_f16_e32 v31, v9, v26
	v_fma_f16 v9, v10, v19, -v37
	v_fmac_f16_e32 v32, v10, v27
	;; [unrolled: 2-line block ×5, first 2 shown]
	v_add_f16_e32 v19, v15, v9
	v_add_f16_e32 v20, v9, v11
	;; [unrolled: 1-line block ×5, first 2 shown]
	v_sub_f16_e32 v21, v32, v34
	v_add_f16_e32 v22, v25, v32
	v_sub_f16_e32 v9, v9, v11
	v_add_f16_e32 v26, v16, v10
	;; [unrolled: 2-line block ×3, first 2 shown]
	v_sub_f16_e32 v10, v10, v12
	v_fmac_f16_e32 v15, -0.5, v20
	v_fmac_f16_e32 v25, -0.5, v24
	;; [unrolled: 1-line block ×4, first 2 shown]
	v_add_f16_e32 v11, v19, v11
	v_add_f16_e32 v19, v22, v34
	;; [unrolled: 1-line block ×3, first 2 shown]
	v_fmamk_f16 v22, v21, 0x3aee, v15
	v_fmac_f16_e32 v15, 0xbaee, v21
	v_fmamk_f16 v21, v9, 0xbaee, v25
	v_fmac_f16_e32 v25, 0x3aee, v9
	v_fmamk_f16 v9, v28, 0x3aee, v16
	v_fmamk_f16 v24, v10, 0xbaee, v31
	v_fmac_f16_e32 v16, 0xbaee, v28
	v_fmac_f16_e32 v31, 0x3aee, v10
	v_add_f16_e32 v20, v29, v35
	v_add_f16_e32 v10, v11, v12
	v_sub_f16_e32 v11, v11, v12
	v_mul_f16_e32 v12, 0x3aee, v24
	v_mul_f16_e32 v28, 0xbaee, v9
	v_mul_f16_e32 v27, -0.5, v16
	v_mul_f16_e32 v29, -0.5, v31
	v_add_f16_e32 v26, v19, v20
	v_fmac_f16_e32 v12, 0.5, v9
	v_fmac_f16_e32 v28, 0.5, v24
	v_fmac_f16_e32 v27, 0x3aee, v31
	v_fmac_f16_e32 v29, 0xbaee, v16
	v_sub_f16_e32 v19, v19, v20
	v_pack_b32_f16 v9, v10, v26
	v_add_f16_e32 v10, v22, v12
	v_add_f16_e32 v20, v21, v28
	;; [unrolled: 1-line block ×4, first 2 shown]
	v_sub_f16_e32 v12, v22, v12
	v_sub_f16_e32 v15, v15, v27
	;; [unrolled: 1-line block ×4, first 2 shown]
	v_pack_b32_f16 v10, v10, v20
	v_pack_b32_f16 v11, v11, v19
	;; [unrolled: 1-line block ×5, first 2 shown]
	ds_store_2addr_b32 v17, v9, v10 offset1:39
	ds_store_2addr_b32 v17, v16, v11 offset0:78 offset1:117
	ds_store_2addr_b32 v17, v12, v15 offset0:156 offset1:195
	s_waitcnt lgkmcnt(0)
	s_barrier
	buffer_gl0_inv
	s_clause 0x1
	global_load_b64 v[9:10], v[13:14], off offset:884
	global_load_b64 v[6:7], v[6:7], off offset:884
	ds_load_2addr_b32 v[11:12], v0 offset1:117
	ds_load_2addr_b32 v[13:14], v18 offset0:106 offset1:223
	ds_load_2addr_b32 v[15:16], v23 offset0:84 offset1:201
	s_waitcnt vmcnt(0) lgkmcnt(0)
	s_barrier
	buffer_gl0_inv
	v_lshrrev_b32_e32 v17, 16, v12
	v_lshrrev_b32_e32 v19, 16, v13
	;; [unrolled: 1-line block ×10, first 2 shown]
	s_delay_alu instid0(VALU_DEP_4)
	v_mul_f16_e32 v29, v24, v19
	v_mul_f16_e32 v24, v24, v13
	v_mul_f16_e32 v30, v26, v20
	v_mul_f16_e32 v26, v26, v15
	v_mul_f16_e32 v31, v27, v21
	v_mul_f16_e32 v27, v27, v14
	v_mul_f16_e32 v32, v28, v22
	v_mul_f16_e32 v28, v28, v16
	v_fma_f16 v13, v9, v13, -v29
	v_fmac_f16_e32 v24, v9, v19
	v_fma_f16 v9, v10, v15, -v30
	v_fmac_f16_e32 v26, v10, v20
	;; [unrolled: 2-line block ×4, first 2 shown]
	v_add_f16_e32 v7, v13, v11
	v_add_f16_e32 v14, v13, v9
	v_sub_f16_e32 v15, v24, v26
	v_add_f16_e32 v16, v24, v25
	v_add_f16_e32 v19, v24, v26
	;; [unrolled: 1-line block ×3, first 2 shown]
	v_sub_f16_e32 v22, v27, v28
	v_add_f16_e32 v24, v17, v27
	v_add_f16_e32 v27, v27, v28
	v_add_f16_e32 v20, v12, v10
	v_sub_f16_e32 v13, v13, v9
	v_sub_f16_e32 v10, v10, v6
	v_add_f16_e32 v7, v7, v9
	v_fma_f16 v9, -0.5, v14, v11
	v_fmac_f16_e32 v25, -0.5, v19
	v_fmac_f16_e32 v12, -0.5, v21
	;; [unrolled: 1-line block ×3, first 2 shown]
	v_add_f16_e32 v11, v16, v26
	v_add_f16_e32 v6, v20, v6
	;; [unrolled: 1-line block ×3, first 2 shown]
	v_fmamk_f16 v16, v15, 0x3aee, v9
	v_fmac_f16_e32 v9, 0xbaee, v15
	v_fmamk_f16 v15, v13, 0xbaee, v25
	v_fmac_f16_e32 v25, 0x3aee, v13
	v_fmamk_f16 v13, v22, 0x3aee, v12
	v_fmamk_f16 v19, v10, 0xbaee, v17
	v_fmac_f16_e32 v12, 0xbaee, v22
	v_fmac_f16_e32 v17, 0x3aee, v10
	v_pack_b32_f16 v7, v7, v11
	v_pack_b32_f16 v6, v6, v14
	;; [unrolled: 1-line block ×6, first 2 shown]
	ds_store_2addr_b32 v0, v7, v6 offset1:117
	ds_store_2addr_b32 v18, v10, v11 offset0:106 offset1:223
	ds_store_2addr_b32 v23, v9, v12 offset0:84 offset1:201
	s_waitcnt lgkmcnt(0)
	s_barrier
	buffer_gl0_inv
	s_and_saveexec_b32 s0, vcc_lo
	s_cbranch_execz .LBB0_23
; %bb.22:
	v_mul_lo_u32 v0, s3, v3
	v_mul_lo_u32 v4, s2, v4
	v_mad_u64_u32 v[9:10], null, s2, v3, 0
	v_dual_mov_b32 v6, v8 :: v_dual_add_nc_u32 v7, 0x75, v5
	v_lshl_add_u32 v17, v5, 2, 0
	s_delay_alu instid0(VALU_DEP_2) | instskip(NEXT) | instid1(VALU_DEP_4)
	v_lshlrev_b64 v[11:12], 2, v[5:6]
	v_add3_u32 v10, v10, v4, v0
	v_lshlrev_b64 v[0:1], 2, v[1:2]
	v_lshlrev_b64 v[13:14], 2, v[7:8]
	v_add_nc_u32_e32 v7, 0xea, v5
	v_add_nc_u32_e32 v4, 0x200, v17
	v_lshlrev_b64 v[9:10], 2, v[9:10]
	ds_load_2addr_b32 v[2:3], v17 offset1:117
	v_add_co_u32 v6, vcc_lo, s6, v9
	v_add_co_ci_u32_e32 v15, vcc_lo, s7, v10, vcc_lo
	v_lshlrev_b64 v[9:10], 2, v[7:8]
	s_delay_alu instid0(VALU_DEP_3) | instskip(NEXT) | instid1(VALU_DEP_3)
	v_add_co_u32 v21, vcc_lo, v6, v0
	v_add_co_ci_u32_e32 v22, vcc_lo, v15, v1, vcc_lo
	v_add_nc_u32_e32 v7, 0x15f, v5
	s_delay_alu instid0(VALU_DEP_3) | instskip(NEXT) | instid1(VALU_DEP_3)
	v_add_co_u32 v0, vcc_lo, v21, v11
	v_add_co_ci_u32_e32 v1, vcc_lo, v22, v12, vcc_lo
	v_add_co_u32 v11, vcc_lo, v21, v13
	v_add_co_ci_u32_e32 v12, vcc_lo, v22, v14, vcc_lo
	ds_load_2addr_b32 v[13:14], v4 offset0:106 offset1:223
	v_add_nc_u32_e32 v4, 0x600, v17
	v_lshlrev_b64 v[15:16], 2, v[7:8]
	v_add_nc_u32_e32 v7, 0x1d4, v5
	v_add_co_u32 v9, vcc_lo, v21, v9
	ds_load_2addr_b32 v[17:18], v4 offset0:84 offset1:201
	v_add_co_ci_u32_e32 v10, vcc_lo, v22, v10, vcc_lo
	v_lshlrev_b64 v[19:20], 2, v[7:8]
	v_add_nc_u32_e32 v7, 0x249, v5
	v_add_co_u32 v4, vcc_lo, v21, v15
	v_add_co_ci_u32_e32 v5, vcc_lo, v22, v16, vcc_lo
	s_delay_alu instid0(VALU_DEP_3) | instskip(SKIP_2) | instid1(VALU_DEP_3)
	v_lshlrev_b64 v[6:7], 2, v[7:8]
	v_add_co_u32 v15, vcc_lo, v21, v19
	v_add_co_ci_u32_e32 v16, vcc_lo, v22, v20, vcc_lo
	v_add_co_u32 v6, vcc_lo, v21, v6
	s_delay_alu instid0(VALU_DEP_4)
	v_add_co_ci_u32_e32 v7, vcc_lo, v22, v7, vcc_lo
	s_waitcnt lgkmcnt(2)
	s_clause 0x1
	global_store_b32 v[0:1], v2, off
	global_store_b32 v[11:12], v3, off
	s_waitcnt lgkmcnt(1)
	s_clause 0x1
	global_store_b32 v[9:10], v13, off
	global_store_b32 v[4:5], v14, off
	;; [unrolled: 4-line block ×3, first 2 shown]
.LBB0_23:
	s_nop 0
	s_sendmsg sendmsg(MSG_DEALLOC_VGPRS)
	s_endpgm
	.section	.rodata,"a",@progbits
	.p2align	6, 0x0
	.amdhsa_kernel fft_rtc_fwd_len702_factors_13_3_6_3_wgs_117_tpt_117_halfLds_half_op_CI_CI_unitstride_sbrr_C2R_dirReg
		.amdhsa_group_segment_fixed_size 0
		.amdhsa_private_segment_fixed_size 0
		.amdhsa_kernarg_size 104
		.amdhsa_user_sgpr_count 15
		.amdhsa_user_sgpr_dispatch_ptr 0
		.amdhsa_user_sgpr_queue_ptr 0
		.amdhsa_user_sgpr_kernarg_segment_ptr 1
		.amdhsa_user_sgpr_dispatch_id 0
		.amdhsa_user_sgpr_private_segment_size 0
		.amdhsa_wavefront_size32 1
		.amdhsa_uses_dynamic_stack 0
		.amdhsa_enable_private_segment 0
		.amdhsa_system_sgpr_workgroup_id_x 1
		.amdhsa_system_sgpr_workgroup_id_y 0
		.amdhsa_system_sgpr_workgroup_id_z 0
		.amdhsa_system_sgpr_workgroup_info 0
		.amdhsa_system_vgpr_workitem_id 0
		.amdhsa_next_free_vgpr 99
		.amdhsa_next_free_sgpr 27
		.amdhsa_reserve_vcc 1
		.amdhsa_float_round_mode_32 0
		.amdhsa_float_round_mode_16_64 0
		.amdhsa_float_denorm_mode_32 3
		.amdhsa_float_denorm_mode_16_64 3
		.amdhsa_dx10_clamp 1
		.amdhsa_ieee_mode 1
		.amdhsa_fp16_overflow 0
		.amdhsa_workgroup_processor_mode 1
		.amdhsa_memory_ordered 1
		.amdhsa_forward_progress 0
		.amdhsa_shared_vgpr_count 0
		.amdhsa_exception_fp_ieee_invalid_op 0
		.amdhsa_exception_fp_denorm_src 0
		.amdhsa_exception_fp_ieee_div_zero 0
		.amdhsa_exception_fp_ieee_overflow 0
		.amdhsa_exception_fp_ieee_underflow 0
		.amdhsa_exception_fp_ieee_inexact 0
		.amdhsa_exception_int_div_zero 0
	.end_amdhsa_kernel
	.text
.Lfunc_end0:
	.size	fft_rtc_fwd_len702_factors_13_3_6_3_wgs_117_tpt_117_halfLds_half_op_CI_CI_unitstride_sbrr_C2R_dirReg, .Lfunc_end0-fft_rtc_fwd_len702_factors_13_3_6_3_wgs_117_tpt_117_halfLds_half_op_CI_CI_unitstride_sbrr_C2R_dirReg
                                        ; -- End function
	.section	.AMDGPU.csdata,"",@progbits
; Kernel info:
; codeLenInByte = 7676
; NumSgprs: 29
; NumVgprs: 99
; ScratchSize: 0
; MemoryBound: 0
; FloatMode: 240
; IeeeMode: 1
; LDSByteSize: 0 bytes/workgroup (compile time only)
; SGPRBlocks: 3
; VGPRBlocks: 12
; NumSGPRsForWavesPerEU: 29
; NumVGPRsForWavesPerEU: 99
; Occupancy: 12
; WaveLimiterHint : 1
; COMPUTE_PGM_RSRC2:SCRATCH_EN: 0
; COMPUTE_PGM_RSRC2:USER_SGPR: 15
; COMPUTE_PGM_RSRC2:TRAP_HANDLER: 0
; COMPUTE_PGM_RSRC2:TGID_X_EN: 1
; COMPUTE_PGM_RSRC2:TGID_Y_EN: 0
; COMPUTE_PGM_RSRC2:TGID_Z_EN: 0
; COMPUTE_PGM_RSRC2:TIDIG_COMP_CNT: 0
	.text
	.p2alignl 7, 3214868480
	.fill 96, 4, 3214868480
	.type	__hip_cuid_4a5a857ae781c0ef,@object ; @__hip_cuid_4a5a857ae781c0ef
	.section	.bss,"aw",@nobits
	.globl	__hip_cuid_4a5a857ae781c0ef
__hip_cuid_4a5a857ae781c0ef:
	.byte	0                               ; 0x0
	.size	__hip_cuid_4a5a857ae781c0ef, 1

	.ident	"AMD clang version 19.0.0git (https://github.com/RadeonOpenCompute/llvm-project roc-6.4.0 25133 c7fe45cf4b819c5991fe208aaa96edf142730f1d)"
	.section	".note.GNU-stack","",@progbits
	.addrsig
	.addrsig_sym __hip_cuid_4a5a857ae781c0ef
	.amdgpu_metadata
---
amdhsa.kernels:
  - .args:
      - .actual_access:  read_only
        .address_space:  global
        .offset:         0
        .size:           8
        .value_kind:     global_buffer
      - .offset:         8
        .size:           8
        .value_kind:     by_value
      - .actual_access:  read_only
        .address_space:  global
        .offset:         16
        .size:           8
        .value_kind:     global_buffer
      - .actual_access:  read_only
        .address_space:  global
        .offset:         24
        .size:           8
        .value_kind:     global_buffer
      - .actual_access:  read_only
        .address_space:  global
        .offset:         32
        .size:           8
        .value_kind:     global_buffer
      - .offset:         40
        .size:           8
        .value_kind:     by_value
      - .actual_access:  read_only
        .address_space:  global
        .offset:         48
        .size:           8
        .value_kind:     global_buffer
      - .actual_access:  read_only
        .address_space:  global
        .offset:         56
        .size:           8
        .value_kind:     global_buffer
      - .offset:         64
        .size:           4
        .value_kind:     by_value
      - .actual_access:  read_only
        .address_space:  global
        .offset:         72
        .size:           8
        .value_kind:     global_buffer
      - .actual_access:  read_only
        .address_space:  global
        .offset:         80
        .size:           8
        .value_kind:     global_buffer
      - .actual_access:  read_only
        .address_space:  global
        .offset:         88
        .size:           8
        .value_kind:     global_buffer
      - .actual_access:  write_only
        .address_space:  global
        .offset:         96
        .size:           8
        .value_kind:     global_buffer
    .group_segment_fixed_size: 0
    .kernarg_segment_align: 8
    .kernarg_segment_size: 104
    .language:       OpenCL C
    .language_version:
      - 2
      - 0
    .max_flat_workgroup_size: 117
    .name:           fft_rtc_fwd_len702_factors_13_3_6_3_wgs_117_tpt_117_halfLds_half_op_CI_CI_unitstride_sbrr_C2R_dirReg
    .private_segment_fixed_size: 0
    .sgpr_count:     29
    .sgpr_spill_count: 0
    .symbol:         fft_rtc_fwd_len702_factors_13_3_6_3_wgs_117_tpt_117_halfLds_half_op_CI_CI_unitstride_sbrr_C2R_dirReg.kd
    .uniform_work_group_size: 1
    .uses_dynamic_stack: false
    .vgpr_count:     99
    .vgpr_spill_count: 0
    .wavefront_size: 32
    .workgroup_processor_mode: 1
amdhsa.target:   amdgcn-amd-amdhsa--gfx1100
amdhsa.version:
  - 1
  - 2
...

	.end_amdgpu_metadata
